;; amdgpu-corpus repo=zjin-lcf/HeCBench kind=compiled arch=gfx1100 opt=O3
	.text
	.amdgcn_target "amdgcn-amd-amdhsa--gfx1100"
	.amdhsa_code_object_version 6
	.protected	_Z3carPKfS0_S0_S0_Pf6paramsiim ; -- Begin function _Z3carPKfS0_S0_S0_Pf6paramsiim
	.globl	_Z3carPKfS0_S0_S0_Pf6paramsiim
	.p2align	8
	.type	_Z3carPKfS0_S0_S0_Pf6paramsiim,@function
_Z3carPKfS0_S0_S0_Pf6paramsiim:         ; @_Z3carPKfS0_S0_S0_Pf6paramsiim
; %bb.0:
	s_clause 0x1
	s_load_b32 s4, s[0:1], 0x64
	s_load_b64 s[2:3], s[0:1], 0x50
	s_waitcnt lgkmcnt(0)
	s_and_b32 s4, s4, 0xffff
	s_delay_alu instid0(SALU_CYCLE_1) | instskip(SKIP_1) | instid1(VALU_DEP_1)
	v_mad_u64_u32 v[4:5], null, s15, s4, v[0:1]
	v_mov_b32_e32 v5, 0
	v_cmp_gt_u64_e32 vcc_lo, s[2:3], v[4:5]
	s_and_saveexec_b32 s2, vcc_lo
	s_cbranch_execz .LBB0_22
; %bb.1:
	s_clause 0x1
	s_load_b128 s[12:15], s[0:1], 0x2c
	s_load_b32 s8, s[0:1], 0x28
	v_mov_b32_e32 v2, 0
	v_mov_b32_e32 v3, 0
	s_waitcnt lgkmcnt(0)
	s_ashr_i32 s5, s12, 31
	s_mul_i32 s6, s14, s13
	s_mul_hi_i32 s7, s14, s13
	s_mul_i32 s2, s6, s5
	s_mul_hi_u32 s3, s6, s12
	s_mul_i32 s4, s7, s12
	s_add_i32 s2, s3, s2
	s_mul_i32 s10, s6, s12
	s_add_i32 s11, s2, s4
	s_mov_b32 s2, s13
	s_mov_b32 s4, s12
	s_mov_b32 s3, exec_lo
	v_cmpx_le_u64_e64 s[10:11], v[4:5]
	s_cbranch_execz .LBB0_3
; %bb.2:
	v_cvt_f32_u32_e32 v0, s10
	s_sub_i32 s9, 0, s10
	s_delay_alu instid0(VALU_DEP_1) | instskip(SKIP_2) | instid1(VALU_DEP_1)
	v_rcp_iflag_f32_e32 v0, v0
	s_waitcnt_depctr 0xfff
	v_mul_f32_e32 v0, 0x4f7ffffe, v0
	v_cvt_u32_f32_e32 v0, v0
	s_delay_alu instid0(VALU_DEP_1) | instskip(NEXT) | instid1(VALU_DEP_1)
	v_mul_lo_u32 v1, s9, v0
	v_mul_hi_u32 v1, v0, v1
	s_delay_alu instid0(VALU_DEP_1) | instskip(NEXT) | instid1(VALU_DEP_1)
	v_add_nc_u32_e32 v0, v0, v1
	v_mul_hi_u32 v0, v4, v0
	s_delay_alu instid0(VALU_DEP_1) | instskip(SKIP_1) | instid1(VALU_DEP_2)
	v_mul_lo_u32 v1, v0, s10
	v_add_nc_u32_e32 v2, 1, v0
	v_sub_nc_u32_e32 v1, v4, v1
	s_delay_alu instid0(VALU_DEP_1) | instskip(SKIP_1) | instid1(VALU_DEP_2)
	v_subrev_nc_u32_e32 v3, s10, v1
	v_cmp_le_u32_e32 vcc_lo, s10, v1
	v_cndmask_b32_e32 v1, v1, v3, vcc_lo
	v_dual_mov_b32 v3, 0 :: v_dual_cndmask_b32 v0, v0, v2
	s_delay_alu instid0(VALU_DEP_2) | instskip(NEXT) | instid1(VALU_DEP_2)
	v_cmp_le_u32_e32 vcc_lo, s10, v1
	v_add_nc_u32_e32 v2, 1, v0
	s_delay_alu instid0(VALU_DEP_1)
	v_cndmask_b32_e32 v2, v0, v2, vcc_lo
.LBB0_3:
	s_or_b32 exec_lo, exec_lo, s3
	s_ashr_i32 s9, s8, 31
	s_mov_b32 s3, exec_lo
	s_delay_alu instid0(VALU_DEP_1)
	v_cmpx_le_u64_e64 s[8:9], v[2:3]
	s_cbranch_execz .LBB0_5
; %bb.4:
	v_cvt_f32_u32_e32 v0, s8
	s_sub_i32 s9, 0, s8
	s_delay_alu instid0(VALU_DEP_1) | instskip(SKIP_2) | instid1(VALU_DEP_1)
	v_rcp_iflag_f32_e32 v0, v0
	s_waitcnt_depctr 0xfff
	v_mul_f32_e32 v0, 0x4f7ffffe, v0
	v_cvt_u32_f32_e32 v0, v0
	s_delay_alu instid0(VALU_DEP_1) | instskip(NEXT) | instid1(VALU_DEP_1)
	v_mul_lo_u32 v1, s9, v0
	v_mul_hi_u32 v1, v0, v1
	s_delay_alu instid0(VALU_DEP_1) | instskip(NEXT) | instid1(VALU_DEP_1)
	v_add_nc_u32_e32 v0, v0, v1
	v_mul_hi_u32 v0, v2, v0
	s_delay_alu instid0(VALU_DEP_1) | instskip(NEXT) | instid1(VALU_DEP_1)
	v_mul_lo_u32 v0, v0, s8
	v_sub_nc_u32_e32 v0, v2, v0
	s_delay_alu instid0(VALU_DEP_1) | instskip(SKIP_1) | instid1(VALU_DEP_2)
	v_subrev_nc_u32_e32 v1, s8, v0
	v_cmp_le_u32_e32 vcc_lo, s8, v0
	v_cndmask_b32_e32 v0, v0, v1, vcc_lo
	s_delay_alu instid0(VALU_DEP_1) | instskip(SKIP_1) | instid1(VALU_DEP_2)
	v_subrev_nc_u32_e32 v1, s8, v0
	v_cmp_le_u32_e32 vcc_lo, s8, v0
	v_cndmask_b32_e32 v2, v0, v1, vcc_lo
.LBB0_5:
	s_or_b32 exec_lo, exec_lo, s3
	v_mov_b32_e32 v6, 0
	v_mov_b32_e32 v7, 0
	s_ashr_i32 s15, s14, 31
	s_mov_b32 s3, exec_lo
	v_cmpx_le_u64_e64 s[6:7], v[4:5]
	s_cbranch_execz .LBB0_7
; %bb.6:
	v_cvt_f32_u32_e32 v0, s6
	s_sub_i32 s7, 0, s6
	v_mov_b32_e32 v7, 0
	s_delay_alu instid0(VALU_DEP_2) | instskip(SKIP_2) | instid1(VALU_DEP_1)
	v_rcp_iflag_f32_e32 v0, v0
	s_waitcnt_depctr 0xfff
	v_mul_f32_e32 v0, 0x4f7ffffe, v0
	v_cvt_u32_f32_e32 v0, v0
	s_delay_alu instid0(VALU_DEP_1) | instskip(NEXT) | instid1(VALU_DEP_1)
	v_mul_lo_u32 v1, s7, v0
	v_mul_hi_u32 v1, v0, v1
	s_delay_alu instid0(VALU_DEP_1) | instskip(NEXT) | instid1(VALU_DEP_1)
	v_add_nc_u32_e32 v0, v0, v1
	v_mul_hi_u32 v0, v4, v0
	s_delay_alu instid0(VALU_DEP_1) | instskip(SKIP_1) | instid1(VALU_DEP_2)
	v_mul_lo_u32 v1, v0, s6
	v_add_nc_u32_e32 v3, 1, v0
	v_sub_nc_u32_e32 v1, v4, v1
	s_delay_alu instid0(VALU_DEP_1) | instskip(SKIP_1) | instid1(VALU_DEP_2)
	v_subrev_nc_u32_e32 v6, s6, v1
	v_cmp_le_u32_e32 vcc_lo, s6, v1
	v_dual_cndmask_b32 v1, v1, v6 :: v_dual_cndmask_b32 v0, v0, v3
	s_delay_alu instid0(VALU_DEP_1) | instskip(NEXT) | instid1(VALU_DEP_2)
	v_cmp_le_u32_e32 vcc_lo, s6, v1
	v_add_nc_u32_e32 v3, 1, v0
	s_delay_alu instid0(VALU_DEP_1)
	v_cndmask_b32_e32 v6, v0, v3, vcc_lo
.LBB0_7:
	s_or_b32 exec_lo, exec_lo, s3
	s_delay_alu instid0(VALU_DEP_1)
	v_cmp_le_u64_e32 vcc_lo, s[4:5], v[6:7]
	s_ashr_i32 s3, s13, 31
	s_and_saveexec_b32 s5, vcc_lo
	s_cbranch_execz .LBB0_9
; %bb.8:
	v_cvt_f32_u32_e32 v0, s4
	s_sub_i32 s6, 0, s4
	s_delay_alu instid0(VALU_DEP_1) | instskip(SKIP_2) | instid1(VALU_DEP_1)
	v_rcp_iflag_f32_e32 v0, v0
	s_waitcnt_depctr 0xfff
	v_mul_f32_e32 v0, 0x4f7ffffe, v0
	v_cvt_u32_f32_e32 v0, v0
	s_delay_alu instid0(VALU_DEP_1) | instskip(NEXT) | instid1(VALU_DEP_1)
	v_mul_lo_u32 v1, s6, v0
	v_mul_hi_u32 v1, v0, v1
	s_delay_alu instid0(VALU_DEP_1) | instskip(NEXT) | instid1(VALU_DEP_1)
	v_add_nc_u32_e32 v0, v0, v1
	v_mul_hi_u32 v0, v6, v0
	s_delay_alu instid0(VALU_DEP_1) | instskip(NEXT) | instid1(VALU_DEP_1)
	v_mul_lo_u32 v0, v0, s4
	v_sub_nc_u32_e32 v0, v6, v0
	s_delay_alu instid0(VALU_DEP_1) | instskip(SKIP_1) | instid1(VALU_DEP_2)
	v_subrev_nc_u32_e32 v1, s4, v0
	v_cmp_le_u32_e32 vcc_lo, s4, v0
	v_cndmask_b32_e32 v0, v0, v1, vcc_lo
	s_delay_alu instid0(VALU_DEP_1) | instskip(SKIP_1) | instid1(VALU_DEP_2)
	v_subrev_nc_u32_e32 v1, s4, v0
	v_cmp_le_u32_e32 vcc_lo, s4, v0
	v_cndmask_b32_e32 v6, v0, v1, vcc_lo
.LBB0_9:
	s_or_b32 exec_lo, exec_lo, s5
	v_mov_b32_e32 v7, 0
	v_mov_b32_e32 v8, 0
	s_mov_b32 s4, exec_lo
	v_cmpx_le_u64_e64 s[14:15], v[4:5]
	s_cbranch_execz .LBB0_11
; %bb.10:
	v_cvt_f32_u32_e32 v0, s14
	s_sub_i32 s5, 0, s14
	v_mov_b32_e32 v8, 0
	s_delay_alu instid0(VALU_DEP_2) | instskip(SKIP_2) | instid1(VALU_DEP_1)
	v_rcp_iflag_f32_e32 v0, v0
	s_waitcnt_depctr 0xfff
	v_mul_f32_e32 v0, 0x4f7ffffe, v0
	v_cvt_u32_f32_e32 v0, v0
	s_delay_alu instid0(VALU_DEP_1) | instskip(NEXT) | instid1(VALU_DEP_1)
	v_mul_lo_u32 v1, s5, v0
	v_mul_hi_u32 v1, v0, v1
	s_delay_alu instid0(VALU_DEP_1) | instskip(NEXT) | instid1(VALU_DEP_1)
	v_add_nc_u32_e32 v0, v0, v1
	v_mul_hi_u32 v0, v4, v0
	s_delay_alu instid0(VALU_DEP_1) | instskip(SKIP_1) | instid1(VALU_DEP_2)
	v_mul_lo_u32 v1, v0, s14
	v_add_nc_u32_e32 v3, 1, v0
	v_sub_nc_u32_e32 v1, v4, v1
	s_delay_alu instid0(VALU_DEP_1) | instskip(SKIP_1) | instid1(VALU_DEP_2)
	v_subrev_nc_u32_e32 v5, s14, v1
	v_cmp_le_u32_e32 vcc_lo, s14, v1
	v_dual_cndmask_b32 v1, v1, v5 :: v_dual_cndmask_b32 v0, v0, v3
	s_delay_alu instid0(VALU_DEP_1) | instskip(NEXT) | instid1(VALU_DEP_2)
	v_cmp_le_u32_e32 vcc_lo, s14, v1
	v_add_nc_u32_e32 v3, 1, v0
	s_delay_alu instid0(VALU_DEP_1)
	v_cndmask_b32_e32 v7, v0, v3, vcc_lo
.LBB0_11:
	s_or_b32 exec_lo, exec_lo, s4
	s_load_b32 s4, s[0:1], 0x38
	s_delay_alu instid0(VALU_DEP_1)
	v_cmp_le_u64_e32 vcc_lo, s[2:3], v[7:8]
	v_dual_mov_b32 v0, v7 :: v_dual_mov_b32 v1, v8
	s_and_saveexec_b32 s3, vcc_lo
	s_cbranch_execz .LBB0_13
; %bb.12:
	v_cvt_f32_u32_e32 v0, s2
	s_sub_i32 s5, 0, s2
	s_delay_alu instid0(VALU_DEP_1) | instskip(SKIP_2) | instid1(VALU_DEP_1)
	v_rcp_iflag_f32_e32 v0, v0
	s_waitcnt_depctr 0xfff
	v_mul_f32_e32 v0, 0x4f7ffffe, v0
	v_cvt_u32_f32_e32 v0, v0
	s_delay_alu instid0(VALU_DEP_1) | instskip(NEXT) | instid1(VALU_DEP_1)
	v_mul_lo_u32 v1, s5, v0
	v_mul_hi_u32 v1, v0, v1
	s_delay_alu instid0(VALU_DEP_1) | instskip(NEXT) | instid1(VALU_DEP_1)
	v_add_nc_u32_e32 v0, v0, v1
	v_mul_hi_u32 v0, v7, v0
	s_delay_alu instid0(VALU_DEP_1) | instskip(NEXT) | instid1(VALU_DEP_1)
	v_mul_lo_u32 v0, v0, s2
	v_sub_nc_u32_e32 v0, v7, v0
	s_delay_alu instid0(VALU_DEP_1) | instskip(SKIP_1) | instid1(VALU_DEP_2)
	v_subrev_nc_u32_e32 v1, s2, v0
	v_cmp_le_u32_e32 vcc_lo, s2, v0
	v_cndmask_b32_e32 v0, v0, v1, vcc_lo
	s_delay_alu instid0(VALU_DEP_1) | instskip(SKIP_1) | instid1(VALU_DEP_2)
	v_subrev_nc_u32_e32 v1, s2, v0
	v_cmp_le_u32_e32 vcc_lo, s2, v0
	v_cndmask_b32_e32 v0, v0, v1, vcc_lo
.LBB0_13:
	s_or_b32 exec_lo, exec_lo, s3
	s_waitcnt lgkmcnt(0)
	v_cvt_f32_i32_e32 v1, s4
	s_delay_alu instid0(VALU_DEP_1) | instskip(SKIP_1) | instid1(VALU_DEP_2)
	v_mul_f32_e32 v3, 0x4f800000, v1
	v_cmp_gt_f32_e32 vcc_lo, 0xf800000, v1
	v_cndmask_b32_e32 v1, v1, v3, vcc_lo
	s_delay_alu instid0(VALU_DEP_1) | instskip(SKIP_3) | instid1(VALU_DEP_2)
	v_sqrt_f32_e32 v3, v1
	s_waitcnt_depctr 0xfff
	v_add_nc_u32_e32 v5, -1, v3
	v_add_nc_u32_e32 v8, 1, v3
	v_fma_f32 v9, -v5, v3, v1
	s_delay_alu instid0(VALU_DEP_2) | instskip(NEXT) | instid1(VALU_DEP_2)
	v_fma_f32 v10, -v8, v3, v1
	v_cmp_ge_f32_e64 s2, 0, v9
	s_delay_alu instid0(VALU_DEP_1) | instskip(NEXT) | instid1(VALU_DEP_3)
	v_cndmask_b32_e64 v3, v3, v5, s2
	v_cmp_lt_f32_e64 s2, 0, v10
	s_delay_alu instid0(VALU_DEP_1) | instskip(SKIP_1) | instid1(VALU_DEP_1)
	v_cndmask_b32_e64 v3, v3, v8, s2
	s_mov_b32 s2, -1
	v_mul_f32_e32 v5, 0x37800000, v3
	s_delay_alu instid0(VALU_DEP_1) | instskip(SKIP_1) | instid1(VALU_DEP_2)
	v_cndmask_b32_e32 v3, v3, v5, vcc_lo
	v_cmp_class_f32_e64 vcc_lo, v1, 0x260
	v_cndmask_b32_e32 v1, v3, v1, vcc_lo
	s_delay_alu instid0(VALU_DEP_1) | instskip(SKIP_1) | instid1(VALU_DEP_2)
	v_cvt_i32_f32_e32 v3, v1
	v_mul_lo_u32 v1, v7, s14
	v_cmp_lt_i32_e32 vcc_lo, 0, v3
	v_readfirstlane_b32 s3, v3
	s_cbranch_vccnz .LBB0_15
; %bb.14:
	v_mad_u64_u32 v[7:8], null, s12, v2, v[6:7]
	s_mov_b32 s4, 0
	s_mov_b32 s2, 0
	s_branch .LBB0_16
.LBB0_15:
                                        ; implicit-def: $sgpr4
                                        ; implicit-def: $vgpr7
.LBB0_16:
	s_load_b64 s[20:21], s[0:1], 0x20
	s_delay_alu instid0(VALU_DEP_3)
	v_sub_nc_u32_e32 v1, v4, v1
	v_mov_b32_e32 v4, s4
	s_and_not1_b32 vcc_lo, exec_lo, s2
	s_cbranch_vccnz .LBB0_21
; %bb.17:
	s_delay_alu instid0(VALU_DEP_2) | instskip(SKIP_4) | instid1(VALU_DEP_3)
	v_cvt_f32_i32_e32 v3, v1
	v_cvt_f32_i32_e32 v4, v0
	v_cvt_f32_i32_e32 v10, s13
	v_cvt_f32_i32_e32 v5, s14
	s_load_b128 s[16:19], s[0:1], 0x3c
	v_dual_add_f32 v9, 0.5, v3 :: v_dual_add_f32 v4, 0.5, v4
	s_load_b256 s[4:11], s[0:1], 0x0
	s_delay_alu instid0(VALU_DEP_1) | instskip(NEXT) | instid1(VALU_DEP_2)
	v_div_scale_f32 v11, null, v5, v5, v9
	v_div_scale_f32 v12, null, v10, v10, v4
	v_div_scale_f32 v16, s2, v4, v10, v4
	s_delay_alu instid0(VALU_DEP_3) | instskip(NEXT) | instid1(VALU_DEP_2)
	v_rcp_f32_e32 v13, v11
	v_rcp_f32_e32 v14, v12
	v_div_scale_f32 v15, vcc_lo, v9, v5, v9
	s_waitcnt lgkmcnt(0)
	s_lshl_b32 s0, s19, 1
	s_waitcnt_depctr 0xfff
	v_fma_f32 v3, -v11, v13, 1.0
	v_fma_f32 v7, -v12, v14, 1.0
	s_sub_i32 s1, s16, s0
	s_sub_i32 s0, s17, s0
	s_delay_alu instid0(VALU_DEP_1) | instskip(SKIP_2) | instid1(VALU_DEP_3)
	v_fmac_f32_e32 v14, v7, v14
	v_fmac_f32_e32 v13, v3, v13
	v_mul_lo_u32 v3, v2, s3
	v_mul_f32_e32 v18, v16, v14
	s_delay_alu instid0(VALU_DEP_1) | instskip(NEXT) | instid1(VALU_DEP_1)
	v_fma_f32 v8, -v12, v18, v16
	v_dual_mul_f32 v17, v15, v13 :: v_dual_fmac_f32 v18, v8, v14
	s_delay_alu instid0(VALU_DEP_1) | instskip(NEXT) | instid1(VALU_DEP_1)
	v_fma_f32 v7, -v11, v17, v15
	v_fmac_f32_e32 v17, v7, v13
	v_mad_u64_u32 v[7:8], null, s12, v2, v[6:7]
	s_delay_alu instid0(VALU_DEP_4) | instskip(SKIP_1) | instid1(VALU_DEP_4)
	v_fma_f32 v6, -v12, v18, v16
	v_cvt_f32_i32_e32 v8, s1
	v_fma_f32 v2, -v11, v17, v15
	v_cvt_f32_i32_e32 v11, s0
	s_mul_i32 s0, s17, s16
	s_add_i32 s1, s17, -1
	s_delay_alu instid0(VALU_DEP_2) | instskip(SKIP_3) | instid1(VALU_DEP_2)
	v_div_fmas_f32 v2, v2, v13, v17
	s_mov_b32 vcc_lo, s2
	s_mov_b32 s2, 0
	v_div_fmas_f32 v6, v6, v14, v18
	v_div_fixup_f32 v9, v2, v5, v9
	v_mul_lo_u32 v2, s0, v7
	v_cvt_f32_i32_e32 v5, s18
	s_delay_alu instid0(VALU_DEP_4) | instskip(SKIP_2) | instid1(VALU_DEP_2)
	v_div_fixup_f32 v4, v6, v10, v4
	s_add_i32 s0, s16, -1
	v_mul_f32_e32 v6, v9, v8
	v_mul_f32_e32 v8, v4, v11
	v_mov_b32_e32 v4, 0
.LBB0_18:                               ; =>This Loop Header: Depth=1
                                        ;     Child Loop BB0_19 Depth 2
	v_cvt_f32_u32_e32 v10, s2
	v_add_nc_u32_e32 v9, s2, v3
	s_mov_b32 s12, 0
	s_delay_alu instid0(VALU_DEP_2) | instskip(NEXT) | instid1(VALU_DEP_2)
	v_add_f32_e32 v10, v8, v10
	v_mul_lo_u32 v9, v9, s3
.LBB0_19:                               ;   Parent Loop BB0_18 Depth=1
                                        ; =>  This Inner Loop Header: Depth=2
	s_delay_alu instid0(VALU_DEP_1) | instskip(NEXT) | instid1(VALU_DEP_1)
	v_add_nc_u32_e32 v13, s12, v9
	v_mad_u64_u32 v[11:12], null, v13, s13, v[0:1]
	s_delay_alu instid0(VALU_DEP_1) | instskip(NEXT) | instid1(VALU_DEP_1)
	v_mad_u64_u32 v[12:13], null, v11, s14, v[1:2]
	v_ashrrev_i32_e32 v13, 31, v12
	s_delay_alu instid0(VALU_DEP_1) | instskip(NEXT) | instid1(VALU_DEP_1)
	v_lshlrev_b64 v[11:12], 2, v[12:13]
	v_add_co_u32 v13, vcc_lo, s8, v11
	s_delay_alu instid0(VALU_DEP_2)
	v_add_co_ci_u32_e32 v14, vcc_lo, s9, v12, vcc_lo
	v_add_co_u32 v15, vcc_lo, s10, v11
	v_add_co_ci_u32_e32 v16, vcc_lo, s11, v12, vcc_lo
	global_load_b32 v13, v[13:14], off
	global_load_b32 v14, v[15:16], off
	v_cvt_f32_u32_e32 v15, s12
	s_add_i32 s12, s12, 1
	s_delay_alu instid0(SALU_CYCLE_1) | instskip(NEXT) | instid1(VALU_DEP_1)
	s_cmp_eq_u32 s3, s12
	v_add_f32_e32 v15, v6, v15
	s_waitcnt vmcnt(1)
	s_delay_alu instid0(VALU_DEP_1) | instskip(SKIP_2) | instid1(VALU_DEP_1)
	v_fmac_f32_e32 v15, v13, v5
	s_waitcnt vmcnt(0)
	v_fma_f32 v14, v14, v5, v10
	v_add_f32_e32 v22, -0.5, v14
	s_delay_alu instid0(VALU_DEP_1) | instskip(SKIP_1) | instid1(VALU_DEP_2)
	v_floor_f32_e32 v24, v22
	v_add_f32_e32 v23, -0.5, v15
	v_cvt_i32_f32_e32 v13, v24
	s_delay_alu instid0(VALU_DEP_2) | instskip(NEXT) | instid1(VALU_DEP_2)
	v_floor_f32_e32 v25, v23
	v_minmax_i32 v15, v13, s1, 0
	s_delay_alu instid0(VALU_DEP_2) | instskip(NEXT) | instid1(VALU_DEP_2)
	v_cvt_i32_f32_e32 v14, v25
	v_add_nc_u32_e32 v16, 1, v15
	s_delay_alu instid0(VALU_DEP_2) | instskip(SKIP_1) | instid1(VALU_DEP_3)
	v_minmax_i32 v19, v14, s0, 0
	v_mad_u64_u32 v[13:14], null, v15, s16, v[2:3]
	v_minmax_i32 v15, v16, s1, 0
	s_delay_alu instid0(VALU_DEP_3) | instskip(NEXT) | instid1(VALU_DEP_2)
	v_add_nc_u32_e32 v14, 1, v19
	v_mad_u64_u32 v[16:17], null, v15, s16, v[2:3]
	s_delay_alu instid0(VALU_DEP_2) | instskip(SKIP_1) | instid1(VALU_DEP_2)
	v_minmax_i32 v21, v14, s0, 0
	v_add_nc_u32_e32 v14, v13, v19
	v_add_nc_u32_e32 v17, v13, v21
	s_delay_alu instid0(VALU_DEP_2) | instskip(SKIP_1) | instid1(VALU_DEP_3)
	v_ashrrev_i32_e32 v15, 31, v14
	v_add_nc_u32_e32 v13, v16, v19
	v_ashrrev_i32_e32 v18, 31, v17
	s_delay_alu instid0(VALU_DEP_3) | instskip(SKIP_1) | instid1(VALU_DEP_4)
	v_lshlrev_b64 v[19:20], 2, v[14:15]
	v_add_nc_u32_e32 v15, v16, v21
	v_ashrrev_i32_e32 v14, 31, v13
	s_delay_alu instid0(VALU_DEP_4) | instskip(NEXT) | instid1(VALU_DEP_4)
	v_lshlrev_b64 v[16:17], 2, v[17:18]
	v_add_co_u32 v18, vcc_lo, s4, v19
	v_add_co_ci_u32_e32 v19, vcc_lo, s5, v20, vcc_lo
	s_delay_alu instid0(VALU_DEP_3) | instskip(NEXT) | instid1(VALU_DEP_4)
	v_add_co_u32 v20, vcc_lo, s4, v16
	v_add_co_ci_u32_e32 v21, vcc_lo, s5, v17, vcc_lo
	s_clause 0x1
	global_load_b32 v17, v[18:19], off
	global_load_b32 v18, v[20:21], off
	v_ashrrev_i32_e32 v16, 31, v15
	v_lshlrev_b64 v[13:14], 2, v[13:14]
	s_delay_alu instid0(VALU_DEP_2) | instskip(NEXT) | instid1(VALU_DEP_2)
	v_lshlrev_b64 v[15:16], 2, v[15:16]
	v_add_co_u32 v13, vcc_lo, s4, v13
	s_delay_alu instid0(VALU_DEP_3) | instskip(NEXT) | instid1(VALU_DEP_3)
	v_add_co_ci_u32_e32 v14, vcc_lo, s5, v14, vcc_lo
	v_add_co_u32 v15, vcc_lo, s4, v15
	s_delay_alu instid0(VALU_DEP_4)
	v_add_co_ci_u32_e32 v16, vcc_lo, s5, v16, vcc_lo
	global_load_b32 v13, v[13:14], off
	v_add_co_u32 v11, vcc_lo, s6, v11
	v_add_co_ci_u32_e32 v12, vcc_lo, s7, v12, vcc_lo
	global_load_b32 v14, v[15:16], off
	global_load_b32 v11, v[11:12], off
	v_dual_sub_f32 v12, v22, v24 :: v_dual_sub_f32 v15, v23, v25
	s_delay_alu instid0(VALU_DEP_1) | instskip(NEXT) | instid1(VALU_DEP_1)
	v_sub_f32_e32 v16, 1.0, v12
	v_mul_f32_e32 v20, v15, v16
	s_waitcnt vmcnt(3)
	s_delay_alu instid0(VALU_DEP_1) | instskip(NEXT) | instid1(VALU_DEP_1)
	v_dual_mul_f32 v18, v18, v20 :: v_dual_sub_f32 v19, 1.0, v15
	v_mul_f32_e32 v16, v19, v16
	s_delay_alu instid0(VALU_DEP_1) | instskip(SKIP_3) | instid1(VALU_DEP_2)
	v_fmac_f32_e32 v18, v17, v16
	v_mul_f32_e32 v19, v19, v12
	v_mul_f32_e32 v12, v15, v12
	s_waitcnt vmcnt(2)
	v_fmac_f32_e32 v18, v13, v19
	s_waitcnt vmcnt(1)
	s_delay_alu instid0(VALU_DEP_1) | instskip(SKIP_1) | instid1(VALU_DEP_1)
	v_fmac_f32_e32 v18, v14, v12
	s_waitcnt vmcnt(0)
	v_fmac_f32_e32 v4, v11, v18
	s_cbranch_scc0 .LBB0_19
; %bb.20:                               ;   in Loop: Header=BB0_18 Depth=1
	s_add_i32 s2, s2, 1
	s_delay_alu instid0(SALU_CYCLE_1)
	s_cmp_eq_u32 s2, s3
	s_cbranch_scc0 .LBB0_18
.LBB0_21:
	s_delay_alu instid0(VALU_DEP_2) | instskip(NEXT) | instid1(VALU_DEP_1)
	v_mad_u64_u32 v[2:3], null, v7, s13, v[0:1]
	v_mad_u64_u32 v[5:6], null, v2, s14, v[1:2]
	s_delay_alu instid0(VALU_DEP_1) | instskip(NEXT) | instid1(VALU_DEP_1)
	v_ashrrev_i32_e32 v6, 31, v5
	v_lshlrev_b64 v[0:1], 2, v[5:6]
	s_waitcnt lgkmcnt(0)
	s_delay_alu instid0(VALU_DEP_1) | instskip(NEXT) | instid1(VALU_DEP_2)
	v_add_co_u32 v0, vcc_lo, s20, v0
	v_add_co_ci_u32_e32 v1, vcc_lo, s21, v1, vcc_lo
	global_store_b32 v[0:1], v4, off
.LBB0_22:
	s_nop 0
	s_sendmsg sendmsg(MSG_DEALLOC_VGPRS)
	s_endpgm
	.section	.rodata,"a",@progbits
	.p2align	6, 0x0
	.amdhsa_kernel _Z3carPKfS0_S0_S0_Pf6paramsiim
		.amdhsa_group_segment_fixed_size 0
		.amdhsa_private_segment_fixed_size 0
		.amdhsa_kernarg_size 344
		.amdhsa_user_sgpr_count 15
		.amdhsa_user_sgpr_dispatch_ptr 0
		.amdhsa_user_sgpr_queue_ptr 0
		.amdhsa_user_sgpr_kernarg_segment_ptr 1
		.amdhsa_user_sgpr_dispatch_id 0
		.amdhsa_user_sgpr_private_segment_size 0
		.amdhsa_wavefront_size32 1
		.amdhsa_uses_dynamic_stack 0
		.amdhsa_enable_private_segment 0
		.amdhsa_system_sgpr_workgroup_id_x 1
		.amdhsa_system_sgpr_workgroup_id_y 0
		.amdhsa_system_sgpr_workgroup_id_z 0
		.amdhsa_system_sgpr_workgroup_info 0
		.amdhsa_system_vgpr_workitem_id 0
		.amdhsa_next_free_vgpr 26
		.amdhsa_next_free_sgpr 22
		.amdhsa_reserve_vcc 1
		.amdhsa_float_round_mode_32 0
		.amdhsa_float_round_mode_16_64 0
		.amdhsa_float_denorm_mode_32 3
		.amdhsa_float_denorm_mode_16_64 3
		.amdhsa_dx10_clamp 1
		.amdhsa_ieee_mode 1
		.amdhsa_fp16_overflow 0
		.amdhsa_workgroup_processor_mode 1
		.amdhsa_memory_ordered 1
		.amdhsa_forward_progress 0
		.amdhsa_shared_vgpr_count 0
		.amdhsa_exception_fp_ieee_invalid_op 0
		.amdhsa_exception_fp_denorm_src 0
		.amdhsa_exception_fp_ieee_div_zero 0
		.amdhsa_exception_fp_ieee_overflow 0
		.amdhsa_exception_fp_ieee_underflow 0
		.amdhsa_exception_fp_ieee_inexact 0
		.amdhsa_exception_int_div_zero 0
	.end_amdhsa_kernel
	.text
.Lfunc_end0:
	.size	_Z3carPKfS0_S0_S0_Pf6paramsiim, .Lfunc_end0-_Z3carPKfS0_S0_S0_Pf6paramsiim
                                        ; -- End function
	.section	.AMDGPU.csdata,"",@progbits
; Kernel info:
; codeLenInByte = 2220
; NumSgprs: 24
; NumVgprs: 26
; ScratchSize: 0
; MemoryBound: 0
; FloatMode: 240
; IeeeMode: 1
; LDSByteSize: 0 bytes/workgroup (compile time only)
; SGPRBlocks: 2
; VGPRBlocks: 3
; NumSGPRsForWavesPerEU: 24
; NumVGPRsForWavesPerEU: 26
; Occupancy: 16
; WaveLimiterHint : 0
; COMPUTE_PGM_RSRC2:SCRATCH_EN: 0
; COMPUTE_PGM_RSRC2:USER_SGPR: 15
; COMPUTE_PGM_RSRC2:TRAP_HANDLER: 0
; COMPUTE_PGM_RSRC2:TGID_X_EN: 1
; COMPUTE_PGM_RSRC2:TGID_Y_EN: 0
; COMPUTE_PGM_RSRC2:TGID_Z_EN: 0
; COMPUTE_PGM_RSRC2:TIDIG_COMP_CNT: 0
	.text
	.p2alignl 7, 3214868480
	.fill 96, 4, 3214868480
	.type	__hip_cuid_55b0005866854711,@object ; @__hip_cuid_55b0005866854711
	.section	.bss,"aw",@nobits
	.globl	__hip_cuid_55b0005866854711
__hip_cuid_55b0005866854711:
	.byte	0                               ; 0x0
	.size	__hip_cuid_55b0005866854711, 1

	.ident	"AMD clang version 19.0.0git (https://github.com/RadeonOpenCompute/llvm-project roc-6.4.0 25133 c7fe45cf4b819c5991fe208aaa96edf142730f1d)"
	.section	".note.GNU-stack","",@progbits
	.addrsig
	.addrsig_sym __hip_cuid_55b0005866854711
	.amdgpu_metadata
---
amdhsa.kernels:
  - .args:
      - .actual_access:  read_only
        .address_space:  global
        .offset:         0
        .size:           8
        .value_kind:     global_buffer
      - .actual_access:  read_only
        .address_space:  global
        .offset:         8
        .size:           8
        .value_kind:     global_buffer
      - .actual_access:  read_only
        .address_space:  global
        .offset:         16
        .size:           8
        .value_kind:     global_buffer
      - .actual_access:  read_only
        .address_space:  global
        .offset:         24
        .size:           8
        .value_kind:     global_buffer
      - .actual_access:  write_only
        .address_space:  global
        .offset:         32
        .size:           8
        .value_kind:     global_buffer
      - .offset:         40
        .size:           28
        .value_kind:     by_value
      - .offset:         68
        .size:           4
        .value_kind:     by_value
      - .offset:         72
        .size:           4
        .value_kind:     by_value
      - .offset:         80
        .size:           8
        .value_kind:     by_value
      - .offset:         88
        .size:           4
        .value_kind:     hidden_block_count_x
      - .offset:         92
        .size:           4
        .value_kind:     hidden_block_count_y
      - .offset:         96
        .size:           4
        .value_kind:     hidden_block_count_z
      - .offset:         100
        .size:           2
        .value_kind:     hidden_group_size_x
      - .offset:         102
        .size:           2
        .value_kind:     hidden_group_size_y
      - .offset:         104
        .size:           2
        .value_kind:     hidden_group_size_z
      - .offset:         106
        .size:           2
        .value_kind:     hidden_remainder_x
      - .offset:         108
        .size:           2
        .value_kind:     hidden_remainder_y
      - .offset:         110
        .size:           2
        .value_kind:     hidden_remainder_z
      - .offset:         128
        .size:           8
        .value_kind:     hidden_global_offset_x
      - .offset:         136
        .size:           8
        .value_kind:     hidden_global_offset_y
      - .offset:         144
        .size:           8
        .value_kind:     hidden_global_offset_z
      - .offset:         152
        .size:           2
        .value_kind:     hidden_grid_dims
    .group_segment_fixed_size: 0
    .kernarg_segment_align: 8
    .kernarg_segment_size: 344
    .language:       OpenCL C
    .language_version:
      - 2
      - 0
    .max_flat_workgroup_size: 1024
    .name:           _Z3carPKfS0_S0_S0_Pf6paramsiim
    .private_segment_fixed_size: 0
    .sgpr_count:     24
    .sgpr_spill_count: 0
    .symbol:         _Z3carPKfS0_S0_S0_Pf6paramsiim.kd
    .uniform_work_group_size: 1
    .uses_dynamic_stack: false
    .vgpr_count:     26
    .vgpr_spill_count: 0
    .wavefront_size: 32
    .workgroup_processor_mode: 1
amdhsa.target:   amdgcn-amd-amdhsa--gfx1100
amdhsa.version:
  - 1
  - 2
...

	.end_amdgpu_metadata
